;; amdgpu-corpus repo=ROCm/rocFFT kind=compiled arch=gfx1030 opt=O3
	.text
	.amdgcn_target "amdgcn-amd-amdhsa--gfx1030"
	.amdhsa_code_object_version 6
	.protected	fft_rtc_back_len768_factors_16_3_16_wgs_48_tpt_48_halfLds_dp_ip_CI_sbrr_dirReg ; -- Begin function fft_rtc_back_len768_factors_16_3_16_wgs_48_tpt_48_halfLds_dp_ip_CI_sbrr_dirReg
	.globl	fft_rtc_back_len768_factors_16_3_16_wgs_48_tpt_48_halfLds_dp_ip_CI_sbrr_dirReg
	.p2align	8
	.type	fft_rtc_back_len768_factors_16_3_16_wgs_48_tpt_48_halfLds_dp_ip_CI_sbrr_dirReg,@function
fft_rtc_back_len768_factors_16_3_16_wgs_48_tpt_48_halfLds_dp_ip_CI_sbrr_dirReg: ; @fft_rtc_back_len768_factors_16_3_16_wgs_48_tpt_48_halfLds_dp_ip_CI_sbrr_dirReg
; %bb.0:
	s_clause 0x2
	s_load_dwordx2 s[14:15], s[4:5], 0x18
	s_load_dwordx4 s[8:11], s[4:5], 0x0
	s_load_dwordx2 s[12:13], s[4:5], 0x50
	v_mul_u32_u24_e32 v1, 0x556, v0
	v_mov_b32_e32 v3, 0
	v_add_nc_u32_sdwa v5, s6, v1 dst_sel:DWORD dst_unused:UNUSED_PAD src0_sel:DWORD src1_sel:WORD_1
	v_mov_b32_e32 v1, 0
	v_mov_b32_e32 v6, v3
	v_mov_b32_e32 v2, 0
	s_waitcnt lgkmcnt(0)
	s_load_dwordx2 s[2:3], s[14:15], 0x0
	v_cmp_lt_u64_e64 s0, s[10:11], 2
	s_and_b32 vcc_lo, exec_lo, s0
	s_cbranch_vccnz .LBB0_8
; %bb.1:
	s_load_dwordx2 s[0:1], s[4:5], 0x10
	v_mov_b32_e32 v1, 0
	s_add_u32 s6, s14, 8
	v_mov_b32_e32 v2, 0
	s_addc_u32 s7, s15, 0
	s_mov_b64 s[18:19], 1
	s_waitcnt lgkmcnt(0)
	s_add_u32 s16, s0, 8
	s_addc_u32 s17, s1, 0
.LBB0_2:                                ; =>This Inner Loop Header: Depth=1
	s_load_dwordx2 s[20:21], s[16:17], 0x0
                                        ; implicit-def: $vgpr7_vgpr8
	s_mov_b32 s0, exec_lo
	s_waitcnt lgkmcnt(0)
	v_or_b32_e32 v4, s21, v6
	v_cmpx_ne_u64_e32 0, v[3:4]
	s_xor_b32 s1, exec_lo, s0
	s_cbranch_execz .LBB0_4
; %bb.3:                                ;   in Loop: Header=BB0_2 Depth=1
	v_cvt_f32_u32_e32 v4, s20
	v_cvt_f32_u32_e32 v7, s21
	s_sub_u32 s0, 0, s20
	s_subb_u32 s22, 0, s21
	v_fmac_f32_e32 v4, 0x4f800000, v7
	v_rcp_f32_e32 v4, v4
	v_mul_f32_e32 v4, 0x5f7ffffc, v4
	v_mul_f32_e32 v7, 0x2f800000, v4
	v_trunc_f32_e32 v7, v7
	v_fmac_f32_e32 v4, 0xcf800000, v7
	v_cvt_u32_f32_e32 v7, v7
	v_cvt_u32_f32_e32 v4, v4
	v_mul_lo_u32 v8, s0, v7
	v_mul_hi_u32 v9, s0, v4
	v_mul_lo_u32 v10, s22, v4
	v_add_nc_u32_e32 v8, v9, v8
	v_mul_lo_u32 v9, s0, v4
	v_add_nc_u32_e32 v8, v8, v10
	v_mul_hi_u32 v10, v4, v9
	v_mul_lo_u32 v11, v4, v8
	v_mul_hi_u32 v12, v4, v8
	v_mul_hi_u32 v13, v7, v9
	v_mul_lo_u32 v9, v7, v9
	v_mul_hi_u32 v14, v7, v8
	v_mul_lo_u32 v8, v7, v8
	v_add_co_u32 v10, vcc_lo, v10, v11
	v_add_co_ci_u32_e32 v11, vcc_lo, 0, v12, vcc_lo
	v_add_co_u32 v9, vcc_lo, v10, v9
	v_add_co_ci_u32_e32 v9, vcc_lo, v11, v13, vcc_lo
	v_add_co_ci_u32_e32 v10, vcc_lo, 0, v14, vcc_lo
	v_add_co_u32 v8, vcc_lo, v9, v8
	v_add_co_ci_u32_e32 v9, vcc_lo, 0, v10, vcc_lo
	v_add_co_u32 v4, vcc_lo, v4, v8
	v_add_co_ci_u32_e32 v7, vcc_lo, v7, v9, vcc_lo
	v_mul_hi_u32 v8, s0, v4
	v_mul_lo_u32 v10, s22, v4
	v_mul_lo_u32 v9, s0, v7
	v_add_nc_u32_e32 v8, v8, v9
	v_mul_lo_u32 v9, s0, v4
	v_add_nc_u32_e32 v8, v8, v10
	v_mul_hi_u32 v10, v4, v9
	v_mul_lo_u32 v11, v4, v8
	v_mul_hi_u32 v12, v4, v8
	v_mul_hi_u32 v13, v7, v9
	v_mul_lo_u32 v9, v7, v9
	v_mul_hi_u32 v14, v7, v8
	v_mul_lo_u32 v8, v7, v8
	v_add_co_u32 v10, vcc_lo, v10, v11
	v_add_co_ci_u32_e32 v11, vcc_lo, 0, v12, vcc_lo
	v_add_co_u32 v9, vcc_lo, v10, v9
	v_add_co_ci_u32_e32 v9, vcc_lo, v11, v13, vcc_lo
	v_add_co_ci_u32_e32 v10, vcc_lo, 0, v14, vcc_lo
	v_add_co_u32 v8, vcc_lo, v9, v8
	v_add_co_ci_u32_e32 v9, vcc_lo, 0, v10, vcc_lo
	v_add_co_u32 v4, vcc_lo, v4, v8
	v_add_co_ci_u32_e32 v11, vcc_lo, v7, v9, vcc_lo
	v_mul_hi_u32 v13, v5, v4
	v_mad_u64_u32 v[9:10], null, v6, v4, 0
	v_mad_u64_u32 v[7:8], null, v5, v11, 0
	;; [unrolled: 1-line block ×3, first 2 shown]
	v_add_co_u32 v4, vcc_lo, v13, v7
	v_add_co_ci_u32_e32 v7, vcc_lo, 0, v8, vcc_lo
	v_add_co_u32 v4, vcc_lo, v4, v9
	v_add_co_ci_u32_e32 v4, vcc_lo, v7, v10, vcc_lo
	v_add_co_ci_u32_e32 v7, vcc_lo, 0, v12, vcc_lo
	v_add_co_u32 v4, vcc_lo, v4, v11
	v_add_co_ci_u32_e32 v9, vcc_lo, 0, v7, vcc_lo
	v_mul_lo_u32 v10, s21, v4
	v_mad_u64_u32 v[7:8], null, s20, v4, 0
	v_mul_lo_u32 v11, s20, v9
	v_sub_co_u32 v7, vcc_lo, v5, v7
	v_add3_u32 v8, v8, v11, v10
	v_sub_nc_u32_e32 v10, v6, v8
	v_subrev_co_ci_u32_e64 v10, s0, s21, v10, vcc_lo
	v_add_co_u32 v11, s0, v4, 2
	v_add_co_ci_u32_e64 v12, s0, 0, v9, s0
	v_sub_co_u32 v13, s0, v7, s20
	v_sub_co_ci_u32_e32 v8, vcc_lo, v6, v8, vcc_lo
	v_subrev_co_ci_u32_e64 v10, s0, 0, v10, s0
	v_cmp_le_u32_e32 vcc_lo, s20, v13
	v_cmp_eq_u32_e64 s0, s21, v8
	v_cndmask_b32_e64 v13, 0, -1, vcc_lo
	v_cmp_le_u32_e32 vcc_lo, s21, v10
	v_cndmask_b32_e64 v14, 0, -1, vcc_lo
	v_cmp_le_u32_e32 vcc_lo, s20, v7
	;; [unrolled: 2-line block ×3, first 2 shown]
	v_cndmask_b32_e64 v15, 0, -1, vcc_lo
	v_cmp_eq_u32_e32 vcc_lo, s21, v10
	v_cndmask_b32_e64 v7, v15, v7, s0
	v_cndmask_b32_e32 v10, v14, v13, vcc_lo
	v_add_co_u32 v13, vcc_lo, v4, 1
	v_add_co_ci_u32_e32 v14, vcc_lo, 0, v9, vcc_lo
	v_cmp_ne_u32_e32 vcc_lo, 0, v10
	v_cndmask_b32_e32 v8, v14, v12, vcc_lo
	v_cndmask_b32_e32 v10, v13, v11, vcc_lo
	v_cmp_ne_u32_e32 vcc_lo, 0, v7
	v_cndmask_b32_e32 v8, v9, v8, vcc_lo
	v_cndmask_b32_e32 v7, v4, v10, vcc_lo
.LBB0_4:                                ;   in Loop: Header=BB0_2 Depth=1
	s_andn2_saveexec_b32 s0, s1
	s_cbranch_execz .LBB0_6
; %bb.5:                                ;   in Loop: Header=BB0_2 Depth=1
	v_cvt_f32_u32_e32 v4, s20
	s_sub_i32 s1, 0, s20
	v_rcp_iflag_f32_e32 v4, v4
	v_mul_f32_e32 v4, 0x4f7ffffe, v4
	v_cvt_u32_f32_e32 v4, v4
	v_mul_lo_u32 v7, s1, v4
	v_mul_hi_u32 v7, v4, v7
	v_add_nc_u32_e32 v4, v4, v7
	v_mul_hi_u32 v4, v5, v4
	v_mul_lo_u32 v7, v4, s20
	v_add_nc_u32_e32 v8, 1, v4
	v_sub_nc_u32_e32 v7, v5, v7
	v_subrev_nc_u32_e32 v9, s20, v7
	v_cmp_le_u32_e32 vcc_lo, s20, v7
	v_cndmask_b32_e32 v7, v7, v9, vcc_lo
	v_cndmask_b32_e32 v4, v4, v8, vcc_lo
	v_cmp_le_u32_e32 vcc_lo, s20, v7
	v_add_nc_u32_e32 v8, 1, v4
	v_cndmask_b32_e32 v7, v4, v8, vcc_lo
	v_mov_b32_e32 v8, v3
.LBB0_6:                                ;   in Loop: Header=BB0_2 Depth=1
	s_or_b32 exec_lo, exec_lo, s0
	s_load_dwordx2 s[0:1], s[6:7], 0x0
	v_mul_lo_u32 v4, v8, s20
	v_mul_lo_u32 v11, v7, s21
	v_mad_u64_u32 v[9:10], null, v7, s20, 0
	s_add_u32 s18, s18, 1
	s_addc_u32 s19, s19, 0
	s_add_u32 s6, s6, 8
	s_addc_u32 s7, s7, 0
	;; [unrolled: 2-line block ×3, first 2 shown]
	v_add3_u32 v4, v10, v11, v4
	v_sub_co_u32 v5, vcc_lo, v5, v9
	v_sub_co_ci_u32_e32 v4, vcc_lo, v6, v4, vcc_lo
	s_waitcnt lgkmcnt(0)
	v_mul_lo_u32 v6, s1, v5
	v_mul_lo_u32 v4, s0, v4
	v_mad_u64_u32 v[1:2], null, s0, v5, v[1:2]
	v_cmp_ge_u64_e64 s0, s[18:19], s[10:11]
	s_and_b32 vcc_lo, exec_lo, s0
	v_add3_u32 v2, v6, v2, v4
	s_cbranch_vccnz .LBB0_9
; %bb.7:                                ;   in Loop: Header=BB0_2 Depth=1
	v_mov_b32_e32 v5, v7
	v_mov_b32_e32 v6, v8
	s_branch .LBB0_2
.LBB0_8:
	v_mov_b32_e32 v8, v6
	v_mov_b32_e32 v7, v5
.LBB0_9:
	s_lshl_b64 s[0:1], s[10:11], 3
	v_mul_hi_u32 v3, 0x5555556, v0
	s_add_u32 s0, s14, s0
	s_addc_u32 s1, s15, s1
	s_load_dwordx2 s[4:5], s[4:5], 0x20
	s_load_dwordx2 s[0:1], s[0:1], 0x0
	v_mul_u32_u24_e32 v3, 48, v3
	v_sub_nc_u32_e32 v98, v0, v3
	v_add_nc_u32_e32 v95, 48, v98
	v_add_nc_u32_e32 v94, 0x60, v98
	;; [unrolled: 1-line block ×3, first 2 shown]
	v_or_b32_e32 v92, 0xc0, v98
	v_add_nc_u32_e32 v96, 0xf0, v98
	s_waitcnt lgkmcnt(0)
	v_cmp_gt_u64_e32 vcc_lo, s[4:5], v[7:8]
	v_mul_lo_u32 v3, s0, v8
	v_mul_lo_u32 v4, s1, v7
	v_mad_u64_u32 v[0:1], null, s0, v7, v[1:2]
	v_cmp_le_u64_e64 s0, s[4:5], v[7:8]
                                        ; implicit-def: $sgpr4
	v_add3_u32 v1, v4, v1, v3
	s_and_saveexec_b32 s1, s0
	s_xor_b32 s0, exec_lo, s1
; %bb.10:
	v_add_nc_u32_e32 v95, 48, v98
	v_add_nc_u32_e32 v94, 0x60, v98
	;; [unrolled: 1-line block ×3, first 2 shown]
	v_or_b32_e32 v92, 0xc0, v98
	v_add_nc_u32_e32 v96, 0xf0, v98
	s_mov_b32 s4, 0
; %bb.11:
	s_or_saveexec_b32 s1, s0
	v_lshlrev_b64 v[84:85], 4, v[0:1]
	v_mov_b32_e32 v104, s4
                                        ; implicit-def: $vgpr6_vgpr7
                                        ; implicit-def: $vgpr10_vgpr11
                                        ; implicit-def: $vgpr22_vgpr23
                                        ; implicit-def: $vgpr14_vgpr15
                                        ; implicit-def: $vgpr26_vgpr27
                                        ; implicit-def: $vgpr30_vgpr31
                                        ; implicit-def: $vgpr18_vgpr19
                                        ; implicit-def: $vgpr42_vgpr43
                                        ; implicit-def: $vgpr46_vgpr47
                                        ; implicit-def: $vgpr50_vgpr51
                                        ; implicit-def: $vgpr54_vgpr55
                                        ; implicit-def: $vgpr62_vgpr63
                                        ; implicit-def: $vgpr58_vgpr59
                                        ; implicit-def: $vgpr38_vgpr39
                                        ; implicit-def: $vgpr34_vgpr35
                                        ; implicit-def: $vgpr2_vgpr3
	s_xor_b32 exec_lo, exec_lo, s1
	s_cbranch_execz .LBB0_13
; %bb.12:
	v_mad_u64_u32 v[0:1], null, s2, v98, 0
	v_mad_u64_u32 v[2:3], null, s2, v95, 0
	;; [unrolled: 1-line block ×4, first 2 shown]
	v_add_co_u32 v55, s0, s12, v84
	v_mad_u64_u32 v[8:9], null, s3, v98, v[1:2]
	v_mad_u64_u32 v[9:10], null, s3, v95, v[3:4]
	;; [unrolled: 1-line block ×3, first 2 shown]
	v_add_co_ci_u32_e64 v59, s0, s13, v85, s0
	v_mov_b32_e32 v1, v8
	v_mad_u64_u32 v[12:13], null, s2, v92, 0
	v_mov_b32_e32 v3, v9
	v_mad_u64_u32 v[7:8], null, s3, v93, v[7:8]
	v_lshlrev_b64 v[0:1], 4, v[0:1]
	v_mov_b32_e32 v5, v10
	v_lshlrev_b64 v[2:3], 4, v[2:3]
	v_mov_b32_e32 v8, v13
	v_mad_u64_u32 v[14:15], null, s2, v96, 0
	v_add_co_u32 v0, s0, v55, v0
	v_add_co_ci_u32_e64 v1, s0, v59, v1, s0
	v_add_co_u32 v9, s0, v55, v2
	v_add_co_ci_u32_e64 v10, s0, v59, v3, s0
	v_lshlrev_b64 v[2:3], 4, v[4:5]
	v_lshlrev_b64 v[4:5], 4, v[6:7]
	v_mad_u64_u32 v[6:7], null, s3, v92, v[8:9]
	v_add_nc_u32_e32 v28, 0x120, v98
	v_or_b32_e32 v30, 0x180, v98
	v_add_co_u32 v16, s0, v55, v2
	v_add_co_ci_u32_e64 v17, s0, v59, v3, s0
	v_mov_b32_e32 v2, v15
	v_add_co_u32 v18, s0, v55, v4
	v_add_co_ci_u32_e64 v19, s0, v59, v5, s0
	v_mov_b32_e32 v13, v6
	v_mad_u64_u32 v[24:25], null, s2, v28, 0
	v_mad_u64_u32 v[26:27], null, s3, v96, v[2:3]
	s_clause 0x3
	global_load_dwordx4 v[0:3], v[0:1], off
	global_load_dwordx4 v[4:7], v[9:10], off
	global_load_dwordx4 v[8:11], v[16:17], off
	global_load_dwordx4 v[20:23], v[18:19], off
	v_add_nc_u32_e32 v19, 0x150, v98
	v_lshlrev_b64 v[12:13], 4, v[12:13]
	v_add_nc_u32_e32 v35, 0x1e0, v98
	v_mov_b32_e32 v16, v25
	v_add_nc_u32_e32 v50, 0x2d0, v98
	v_mad_u64_u32 v[17:18], null, s2, v19, 0
	v_mov_b32_e32 v15, v26
	v_add_co_u32 v12, s0, v55, v12
	v_add_co_ci_u32_e64 v13, s0, v59, v13, s0
	v_lshlrev_b64 v[14:15], 4, v[14:15]
	v_mad_u64_u32 v[25:26], null, s3, v28, v[16:17]
	v_mov_b32_e32 v16, v18
	v_mad_u64_u32 v[26:27], null, s2, v30, 0
	v_add_co_u32 v28, s0, v55, v14
	v_mad_u64_u32 v[18:19], null, s3, v19, v[16:17]
	v_add_nc_u32_e32 v19, 0x1b0, v98
	v_add_co_ci_u32_e64 v29, s0, v59, v15, s0
	v_lshlrev_b64 v[14:15], 4, v[24:25]
	v_mov_b32_e32 v16, v27
	v_mad_u64_u32 v[24:25], null, s2, v19, 0
	v_mad_u64_u32 v[46:47], null, s2, v50, 0
	;; [unrolled: 1-line block ×3, first 2 shown]
	v_add_co_u32 v31, s0, v55, v14
	v_add_co_ci_u32_e64 v32, s0, v59, v15, s0
	v_lshlrev_b64 v[14:15], 4, v[17:18]
	v_mad_u64_u32 v[17:18], null, s2, v35, 0
	v_mov_b32_e32 v16, v25
	v_mov_b32_e32 v27, v30
	v_add_nc_u32_e32 v30, 0x210, v98
	v_add_co_u32 v36, s0, v55, v14
	v_add_co_ci_u32_e64 v37, s0, v59, v15, s0
	v_mad_u64_u32 v[33:34], null, s3, v19, v[16:17]
	v_lshlrev_b64 v[14:15], 4, v[26:27]
	v_mad_u64_u32 v[26:27], null, s2, v30, 0
	v_mov_b32_e32 v16, v18
	v_mov_b32_e32 v104, v98
	;; [unrolled: 1-line block ×3, first 2 shown]
	v_add_co_u32 v38, s0, v55, v14
	v_mad_u64_u32 v[18:19], null, s3, v35, v[16:17]
	v_add_co_ci_u32_e64 v39, s0, v59, v15, s0
	v_lshlrev_b64 v[15:16], 4, v[24:25]
	v_or_b32_e32 v19, 0x240, v98
	v_mov_b32_e32 v14, v27
	v_mad_u64_u32 v[24:25], null, s2, v19, 0
	v_mad_u64_u32 v[33:34], null, s3, v30, v[14:15]
	v_add_co_u32 v40, s0, v55, v15
	v_add_co_ci_u32_e64 v41, s0, v59, v16, s0
	v_mov_b32_e32 v16, v25
	v_lshlrev_b64 v[14:15], 4, v[17:18]
	v_mov_b32_e32 v27, v33
	v_add_nc_u32_e32 v33, 0x2a0, v98
	v_add_nc_u32_e32 v30, 0x270, v98
	v_mad_u64_u32 v[16:17], null, s3, v19, v[16:17]
	v_add_co_u32 v44, s0, v55, v14
	v_mad_u64_u32 v[42:43], null, s2, v33, 0
	v_mad_u64_u32 v[17:18], null, s2, v30, 0
	v_mov_b32_e32 v25, v16
	v_add_co_ci_u32_e64 v45, s0, v59, v15, s0
	v_lshlrev_b64 v[14:15], 4, v[26:27]
	v_mov_b32_e32 v16, v43
	v_mad_u64_u32 v[18:19], null, s3, v30, v[18:19]
	v_mad_u64_u32 v[33:34], null, s3, v33, v[16:17]
	v_mov_b32_e32 v16, v47
	v_lshlrev_b64 v[34:35], 4, v[24:25]
	v_add_co_u32 v48, s0, v55, v14
	v_add_co_ci_u32_e64 v49, s0, v59, v15, s0
	v_mad_u64_u32 v[50:51], null, s3, v50, v[16:17]
	v_mov_b32_e32 v43, v33
	v_lshlrev_b64 v[16:17], 4, v[17:18]
	v_add_co_u32 v51, s0, v55, v34
	v_add_co_ci_u32_e64 v52, s0, v59, v35, s0
	v_mov_b32_e32 v47, v50
	v_lshlrev_b64 v[18:19], 4, v[42:43]
	v_add_co_u32 v53, s0, v55, v16
	v_add_co_ci_u32_e64 v54, s0, v59, v17, s0
	v_lshlrev_b64 v[16:17], 4, v[46:47]
	v_add_co_u32 v56, s0, v55, v18
	v_add_co_ci_u32_e64 v57, s0, v59, v19, s0
	s_clause 0x1
	global_load_dwordx4 v[12:15], v[12:13], off
	global_load_dwordx4 v[24:27], v[28:29], off
	v_add_co_u32 v58, s0, v55, v16
	v_add_co_ci_u32_e64 v59, s0, v59, v17, s0
	s_clause 0x9
	global_load_dwordx4 v[32:35], v[31:32], off
	global_load_dwordx4 v[28:31], v[36:37], off
	;; [unrolled: 1-line block ×10, first 2 shown]
.LBB0_13:
	s_or_b32 exec_lo, exec_lo, s1
	s_waitcnt vmcnt(7)
	v_add_f64 v[64:65], v[0:1], -v[16:17]
	s_waitcnt vmcnt(1)
	v_add_f64 v[62:63], v[34:35], -v[62:63]
	v_add_f64 v[36:37], v[4:5], -v[36:37]
	;; [unrolled: 1-line block ×6, first 2 shown]
	s_waitcnt vmcnt(0)
	v_add_f64 v[58:59], v[30:31], -v[58:59]
	v_add_f64 v[52:53], v[24:25], -v[52:53]
	;; [unrolled: 1-line block ×8, first 2 shown]
	s_mov_b32 s0, 0x667f3bcd
	s_mov_b32 s1, 0x3fe6a09e
	;; [unrolled: 1-line block ×7, first 2 shown]
	v_fma_f64 v[72:73], v[0:1], 2.0, -v[64:65]
	v_fma_f64 v[34:35], v[34:35], 2.0, -v[62:63]
	;; [unrolled: 1-line block ×3, first 2 shown]
	v_add_f64 v[56:57], v[54:55], v[36:37]
	v_fma_f64 v[20:21], v[20:21], 2.0, -v[44:45]
	v_add_f64 v[68:69], v[16:17], v[64:65]
	v_add_f64 v[74:75], v[50:51], v[62:63]
	;; [unrolled: 1-line block ×3, first 2 shown]
	v_fma_f64 v[24:25], v[24:25], 2.0, -v[52:53]
	v_fma_f64 v[12:13], v[12:13], 2.0, -v[40:41]
	;; [unrolled: 1-line block ×7, first 2 shown]
	v_add_f64 v[60:61], v[42:43], -v[60:61]
	v_add_f64 v[30:31], v[38:39], -v[52:53]
	;; [unrolled: 1-line block ×3, first 2 shown]
	v_fma_f64 v[8:9], v[8:9], 2.0, -v[50:51]
	v_fma_f64 v[6:7], v[6:7], 2.0, -v[38:39]
	;; [unrolled: 1-line block ×3, first 2 shown]
	s_mov_b32 s14, s4
	s_mov_b32 s10, 0xa6aea964
	;; [unrolled: 1-line block ×4, first 2 shown]
	v_fma_f64 v[36:37], v[36:37], 2.0, -v[56:57]
	s_mov_b32 s6, s10
	v_fma_f64 v[58:59], v[64:65], 2.0, -v[68:69]
	v_fma_f64 v[76:77], v[50:51], 2.0, -v[74:75]
	;; [unrolled: 1-line block ×3, first 2 shown]
	v_add_f64 v[24:25], v[4:5], -v[24:25]
	v_add_f64 v[44:45], v[72:73], -v[12:13]
	;; [unrolled: 1-line block ×3, first 2 shown]
	v_fma_f64 v[12:13], v[74:75], s[0:1], v[68:69]
	v_fma_f64 v[34:35], v[70:71], s[0:1], v[56:57]
	v_add_f64 v[28:29], v[10:11], -v[28:29]
	v_add_f64 v[22:23], v[20:21], -v[22:23]
	v_fma_f64 v[78:79], v[42:43], 2.0, -v[60:61]
	v_fma_f64 v[38:39], v[38:39], 2.0, -v[30:31]
	;; [unrolled: 1-line block ×3, first 2 shown]
	v_add_f64 v[66:67], v[8:9], -v[32:33]
	v_fma_f64 v[50:51], v[48:49], s[0:1], v[30:31]
	v_add_f64 v[26:27], v[6:7], -v[26:27]
	v_lshl_add_u32 v97, v98, 7, 0
	v_lshl_add_u32 v100, v95, 3, 0
	;; [unrolled: 1-line block ×5, first 2 shown]
	v_mad_i32_i24 v103, 0xffffff88, v98, v97
	v_mul_f64 v[88:89], v[60:61], s[0:1]
	v_fma_f64 v[32:33], v[76:77], s[16:17], v[58:59]
	v_fma_f64 v[42:43], v[52:53], s[16:17], v[36:37]
	v_fma_f64 v[4:5], v[4:5], 2.0, -v[24:25]
	v_fma_f64 v[72:73], v[72:73], 2.0, -v[44:45]
	v_add_nc_u32_e32 v113, 0x1000, v103
	v_fma_f64 v[80:81], v[60:61], s[0:1], v[12:13]
	v_fma_f64 v[12:13], v[48:49], s[0:1], v[34:35]
	v_add_f64 v[34:35], v[62:63], v[44:45]
	v_add_f64 v[105:106], v[28:29], v[24:25]
	v_fma_f64 v[20:21], v[20:21], 2.0, -v[22:23]
	v_add_nc_u32_e32 v114, 0x800, v103
	v_fma_f64 v[54:55], v[46:47], s[16:17], v[38:39]
	v_fma_f64 v[8:9], v[8:9], 2.0, -v[66:67]
	v_fma_f64 v[48:49], v[70:71], s[16:17], v[50:51]
	v_add_f64 v[107:108], v[26:27], -v[22:23]
	v_fma_f64 v[50:51], v[6:7], 2.0, -v[26:27]
	v_fma_f64 v[6:7], v[10:11], 2.0, -v[28:29]
	v_mul_f64 v[90:91], v[78:79], s[0:1]
	v_fma_f64 v[82:83], v[78:79], s[0:1], v[32:33]
	v_fma_f64 v[42:43], v[46:47], s[0:1], v[42:43]
	v_fma_f64 v[68:69], v[68:69], 2.0, -v[80:81]
	v_fma_f64 v[10:11], v[12:13], s[14:15], v[80:81]
	v_fma_f64 v[86:87], v[44:45], 2.0, -v[34:35]
	v_fma_f64 v[109:110], v[24:25], 2.0, -v[105:106]
	;; [unrolled: 1-line block ×3, first 2 shown]
	v_fma_f64 v[54:55], v[52:53], s[16:17], v[54:55]
	v_add_f64 v[32:33], v[72:73], -v[8:9]
	v_add_f64 v[52:53], v[4:5], -v[20:21]
	v_fma_f64 v[8:9], v[105:106], s[0:1], v[34:35]
	v_fma_f64 v[111:112], v[26:27], 2.0, -v[107:108]
	v_fma_f64 v[64:65], v[30:31], 2.0, -v[48:49]
	v_add_f64 v[70:71], v[50:51], -v[6:7]
	v_fma_f64 v[58:59], v[58:59], 2.0, -v[82:83]
	v_fma_f64 v[46:47], v[36:37], 2.0, -v[42:43]
	v_fma_f64 v[24:25], v[42:43], s[10:11], v[82:83]
	v_fma_f64 v[6:7], v[48:49], s[10:11], v[10:11]
	;; [unrolled: 1-line block ×4, first 2 shown]
	v_fma_f64 v[56:57], v[72:73], 2.0, -v[32:33]
	v_fma_f64 v[26:27], v[4:5], 2.0, -v[52:53]
	;; [unrolled: 1-line block ×3, first 2 shown]
	v_fma_f64 v[4:5], v[107:108], s[0:1], v[8:9]
	v_mul_f64 v[78:79], v[111:112], s[0:1]
	v_add_f64 v[8:9], v[70:71], v[32:33]
	v_fma_f64 v[28:29], v[46:47], s[4:5], v[58:59]
	v_fma_f64 v[10:11], v[54:55], s[14:15], v[24:25]
	v_fma_f64 v[30:31], v[80:81], 2.0, -v[6:7]
	v_mul_f64 v[80:81], v[107:108], s[0:1]
	v_fma_f64 v[20:21], v[111:112], s[0:1], v[20:21]
	v_fma_f64 v[22:23], v[64:65], s[14:15], v[22:23]
	v_add_f64 v[24:25], v[56:57], -v[26:27]
	v_fma_f64 v[32:33], v[32:33], 2.0, -v[8:9]
	v_fma_f64 v[26:27], v[72:73], s[10:11], v[28:29]
	v_fma_f64 v[28:29], v[34:35], 2.0, -v[4:5]
	v_fma_f64 v[34:35], v[82:83], 2.0, -v[10:11]
	v_mul_f64 v[82:83], v[76:77], s[0:1]
	v_mul_f64 v[76:77], v[105:106], s[0:1]
	v_lshl_add_u32 v106, v96, 3, 0
	v_fma_f64 v[36:37], v[86:87], 2.0, -v[20:21]
	v_fma_f64 v[38:39], v[68:69], 2.0, -v[22:23]
	v_mul_f64 v[86:87], v[74:75], s[0:1]
	v_mul_f64 v[74:75], v[109:110], s[0:1]
	v_cmp_gt_u32_e64 s0, 16, v98
	v_fma_f64 v[56:57], v[56:57], 2.0, -v[24:25]
	v_fma_f64 v[58:59], v[58:59], 2.0, -v[26:27]
	ds_write_b128 v97, v[4:7] offset:112
	ds_write_b128 v97, v[28:31] offset:48
	;; [unrolled: 1-line block ×7, first 2 shown]
	ds_write_b128 v97, v[56:59]
	s_waitcnt lgkmcnt(0)
	s_barrier
	buffer_gl0_inv
	ds_read_b64 v[60:61], v100
	ds_read_b64 v[58:59], v101
	;; [unrolled: 1-line block ×4, first 2 shown]
	ds_read_b64 v[68:69], v103 offset:5632
	ds_read2st64_b64 v[20:23], v103 offset1:4
	ds_read2_b64 v[36:39], v113 offset1:48
	ds_read2_b64 v[28:31], v113 offset0:96 offset1:144
	ds_read2_b64 v[32:35], v114 offset0:48 offset1:96
	;; [unrolled: 1-line block ×3, first 2 shown]
	v_mul_i32_i24_e32 v8, 0xffffff88, v98
                                        ; implicit-def: $vgpr10_vgpr11
	v_add_nc_u32_e32 v105, v97, v8
	s_and_saveexec_b32 s1, s0
	s_cbranch_execz .LBB0_15
; %bb.14:
	v_add_nc_u32_e32 v8, 0x180, v105
	ds_read_b64 v[6:7], v106
	ds_read2st64_b64 v[8:11], v8 offset0:7 offset1:11
.LBB0_15:
	s_or_b32 exec_lo, exec_lo, s1
	v_add_f64 v[18:19], v[2:3], -v[18:19]
	v_fma_f64 v[14:15], v[14:15], 2.0, -v[16:17]
	v_fma_f64 v[0:1], v[0:1], 2.0, -v[62:63]
	s_waitcnt lgkmcnt(0)
	s_barrier
	buffer_gl0_inv
	v_add_f64 v[40:41], v[18:19], -v[40:41]
	v_fma_f64 v[2:3], v[2:3], 2.0, -v[18:19]
	v_fma_f64 v[16:17], v[18:19], 2.0, -v[40:41]
	v_add_f64 v[14:15], v[2:3], -v[14:15]
	v_add_f64 v[18:19], v[40:41], v[88:89]
	v_add_f64 v[88:89], v[16:17], -v[90:91]
	v_add_f64 v[66:67], v[14:15], -v[66:67]
	;; [unrolled: 1-line block ×3, first 2 shown]
	v_fma_f64 v[2:3], v[2:3], 2.0, -v[14:15]
	v_add_f64 v[82:83], v[88:89], -v[82:83]
	v_fma_f64 v[62:63], v[14:15], 2.0, -v[66:67]
	v_fma_f64 v[86:87], v[40:41], 2.0, -v[18:19]
	v_add_f64 v[88:89], v[2:3], -v[0:1]
	v_add_f64 v[0:1], v[80:81], v[66:67]
	v_fma_f64 v[40:41], v[50:51], 2.0, -v[70:71]
	v_fma_f64 v[90:91], v[16:17], 2.0, -v[82:83]
	v_fma_f64 v[16:17], v[48:49], s[14:15], v[18:19]
	v_add_f64 v[48:49], v[62:63], -v[78:79]
	v_fma_f64 v[50:51], v[64:65], s[6:7], v[86:87]
	v_fma_f64 v[54:55], v[54:55], s[10:11], v[82:83]
	v_fma_f64 v[70:71], v[2:3], 2.0, -v[88:89]
	v_add_f64 v[14:15], v[0:1], -v[76:77]
	v_add_f64 v[0:1], v[88:89], -v[52:53]
	v_fma_f64 v[64:65], v[72:73], s[4:5], v[90:91]
	v_fma_f64 v[16:17], v[12:13], s[6:7], v[16:17]
	v_add_f64 v[48:49], v[48:49], -v[74:75]
	v_fma_f64 v[50:51], v[44:45], s[4:5], v[50:51]
	v_fma_f64 v[2:3], v[42:43], s[4:5], v[54:55]
	v_add_f64 v[40:41], v[70:71], -v[40:41]
	v_fma_f64 v[44:45], v[66:67], 2.0, -v[14:15]
	v_fma_f64 v[52:53], v[88:89], 2.0, -v[0:1]
	v_add_nc_u32_e32 v12, 0x1000, v105
	v_add_nc_u32_e32 v13, 0x800, v105
	v_fma_f64 v[42:43], v[46:47], s[6:7], v[64:65]
	v_fma_f64 v[46:47], v[18:19], 2.0, -v[16:17]
	v_fma_f64 v[62:63], v[62:63], 2.0, -v[48:49]
	;; [unrolled: 1-line block ×6, first 2 shown]
	ds_write_b128 v97, v[14:17] offset:112
	ds_write_b128 v97, v[44:47] offset:48
	;; [unrolled: 1-line block ×7, first 2 shown]
	ds_write_b128 v97, v[70:73]
	s_waitcnt lgkmcnt(0)
	s_barrier
	buffer_gl0_inv
	ds_read2st64_b64 v[0:3], v105 offset1:4
	ds_read2_b64 v[52:55], v12 offset1:48
	ds_read2_b64 v[48:51], v13 offset0:48 offset1:96
	ds_read2_b64 v[44:47], v12 offset0:96 offset1:144
	;; [unrolled: 1-line block ×3, first 2 shown]
	ds_read_b64 v[18:19], v100
	ds_read_b64 v[62:63], v101
	;; [unrolled: 1-line block ×4, first 2 shown]
	ds_read_b64 v[70:71], v105 offset:5632
                                        ; implicit-def: $vgpr14_vgpr15
	s_and_saveexec_b32 s1, s0
	s_cbranch_execz .LBB0_17
; %bb.16:
	v_add_nc_u32_e32 v12, 0x180, v105
	ds_read_b64 v[16:17], v106
	ds_read2st64_b64 v[12:15], v12 offset0:7 offset1:11
.LBB0_17:
	s_or_b32 exec_lo, exec_lo, s1
	v_and_b32_e32 v103, 15, v98
	v_lshrrev_b32_e32 v141, 4, v93
	v_lshrrev_b32_e32 v142, 4, v92
	s_mov_b32 s4, 0xe8584caa
	s_mov_b32 s5, 0xbfebb67a
	v_lshlrev_b32_e32 v72, 5, v103
	s_mov_b32 s7, 0x3febb67a
	s_mov_b32 s6, s4
	s_clause 0x1
	global_load_dwordx4 v[86:89], v72, s[8:9] offset:16
	global_load_dwordx4 v[78:81], v72, s[8:9]
	v_lshlrev_b32_e32 v72, 5, v98
	v_and_b32_e32 v72, 0x1e0, v72
	s_clause 0x1
	global_load_dwordx4 v[107:110], v72, s[8:9]
	global_load_dwordx4 v[111:114], v72, s[8:9] offset:16
	s_waitcnt vmcnt(0) lgkmcnt(0)
	s_barrier
	buffer_gl0_inv
	v_mul_f64 v[72:73], v[52:53], v[88:89]
	v_mul_f64 v[74:75], v[2:3], v[80:81]
	v_mul_f64 v[82:83], v[48:49], v[80:81]
	v_mul_f64 v[90:91], v[50:51], v[80:81]
	v_mul_f64 v[96:97], v[44:45], v[88:89]
	v_mul_f64 v[115:116], v[46:47], v[88:89]
	v_mul_f64 v[117:118], v[40:41], v[80:81]
	v_mul_f64 v[119:120], v[42:43], v[80:81]
	v_mul_f64 v[121:122], v[70:71], v[88:89]
	v_mul_f64 v[76:77], v[54:55], v[88:89]
	v_mul_f64 v[123:124], v[22:23], v[80:81]
	v_mul_f64 v[125:126], v[36:37], v[88:89]
	v_mul_f64 v[127:128], v[32:33], v[80:81]
	v_mul_f64 v[129:130], v[38:39], v[88:89]
	v_mul_f64 v[131:132], v[34:35], v[80:81]
	v_mul_f64 v[133:134], v[28:29], v[88:89]
	v_mul_f64 v[135:136], v[24:25], v[80:81]
	v_mul_f64 v[137:138], v[30:31], v[88:89]
	v_mul_f64 v[88:89], v[68:69], v[88:89]
	v_mul_f64 v[139:140], v[26:27], v[80:81]
	v_lshl_add_u32 v80, v98, 3, 0
	v_fma_f64 v[36:37], v[36:37], v[86:87], v[72:73]
	v_fma_f64 v[72:73], v[22:23], v[78:79], v[74:75]
	;; [unrolled: 1-line block ×10, first 2 shown]
	v_fma_f64 v[2:3], v[2:3], v[78:79], -v[123:124]
	v_fma_f64 v[26:27], v[52:53], v[86:87], -v[125:126]
	;; [unrolled: 1-line block ×10, first 2 shown]
	v_lshrrev_b32_e32 v90, 4, v95
	v_lshrrev_b32_e32 v91, 4, v94
	v_mul_f64 v[86:87], v[12:13], v[109:110]
	v_add_f64 v[52:53], v[72:73], v[36:37]
	v_mul_f64 v[88:89], v[8:9], v[109:110]
	v_mul_lo_u32 v125, v90, 48
	v_add_f64 v[81:82], v[32:33], v[34:35]
	v_mul_lo_u32 v126, v91, 48
	v_add_f64 v[42:43], v[30:31], v[28:29]
	v_mul_f64 v[90:91], v[14:15], v[113:114]
	v_add_f64 v[70:71], v[22:23], v[24:25]
	v_add_f64 v[40:41], v[74:75], v[38:39]
	;; [unrolled: 1-line block ×3, first 2 shown]
	v_add_f64 v[94:95], v[2:3], -v[26:27]
	v_add_f64 v[117:118], v[4:5], v[22:23]
	v_add_f64 v[96:97], v[60:61], v[74:75]
	v_add_f64 v[119:120], v[68:69], -v[48:49]
	v_add_f64 v[109:110], v[58:59], v[32:33]
	v_add_f64 v[121:122], v[54:55], -v[44:45]
	v_add_f64 v[115:116], v[56:57], v[30:31]
	v_lshrrev_b32_e32 v83, 4, v98
	v_add_f64 v[123:124], v[78:79], -v[50:51]
	v_mul_lo_u32 v127, v141, 48
	v_mul_lo_u32 v128, v142, 48
	v_mul_u32_u24_e32 v83, 48, v83
	v_fma_f64 v[52:53], v[52:53], -0.5, v[20:21]
	v_fma_f64 v[20:21], v[12:13], v[107:108], -v[88:89]
	v_fma_f64 v[58:59], v[81:82], -0.5, v[58:59]
	v_add_f64 v[81:82], v[76:77], -v[46:47]
	v_fma_f64 v[56:57], v[42:43], -0.5, v[56:57]
	v_fma_f64 v[42:43], v[10:11], v[111:112], v[90:91]
	v_fma_f64 v[4:5], v[70:71], -0.5, v[4:5]
	v_mul_f64 v[70:71], v[10:11], v[113:114]
	v_fma_f64 v[60:61], v[40:41], -0.5, v[60:61]
	v_fma_f64 v[40:41], v[8:9], v[107:108], v[86:87]
	v_add_f64 v[8:9], v[92:93], v[36:37]
	v_add_f64 v[10:11], v[96:97], v[38:39]
	;; [unrolled: 1-line block ×5, first 2 shown]
	v_fma_f64 v[90:91], v[94:95], s[4:5], v[52:53]
	v_fma_f64 v[92:93], v[94:95], s[6:7], v[52:53]
	;; [unrolled: 1-line block ×7, first 2 shown]
	v_fma_f64 v[52:53], v[14:15], v[111:112], -v[70:71]
	v_fma_f64 v[94:95], v[119:120], s[4:5], v[60:61]
	v_fma_f64 v[96:97], v[119:120], s[6:7], v[60:61]
	;; [unrolled: 1-line block ×3, first 2 shown]
	v_or_b32_e32 v14, v83, v103
	v_or_b32_e32 v15, v125, v103
	;; [unrolled: 1-line block ×5, first 2 shown]
	v_lshl_add_u32 v60, v14, 3, 0
	v_lshl_add_u32 v59, v15, 3, 0
	;; [unrolled: 1-line block ×5, first 2 shown]
	ds_write2_b64 v60, v[8:9], v[90:91] offset1:16
	ds_write_b64 v60, v[92:93] offset:256
	ds_write2_b64 v59, v[10:11], v[94:95] offset1:16
	ds_write_b64 v59, v[96:97] offset:256
	;; [unrolled: 2-line block ×5, first 2 shown]
	s_and_saveexec_b32 s1, s0
	s_cbranch_execz .LBB0_19
; %bb.18:
	v_add_f64 v[4:5], v[40:41], v[42:43]
	v_add_f64 v[8:9], v[20:21], -v[52:53]
	v_add_f64 v[10:11], v[6:7], v[40:41]
	v_fma_f64 v[4:5], v[4:5], -0.5, v[6:7]
	v_add_f64 v[6:7], v[10:11], v[42:43]
	v_fma_f64 v[10:11], v[8:9], s[4:5], v[4:5]
	v_fma_f64 v[4:5], v[8:9], s[6:7], v[4:5]
	v_add_nc_u32_e32 v8, 0x1000, v80
	ds_write2_b64 v8, v[6:7], v[10:11] offset0:208 offset1:224
	ds_write_b64 v80, v[4:5] offset:6016
.LBB0_19:
	s_or_b32 exec_lo, exec_lo, s1
	v_add_f64 v[4:5], v[2:3], v[26:27]
	v_add_f64 v[6:7], v[68:69], v[48:49]
	;; [unrolled: 1-line block ×6, first 2 shown]
	v_add_f64 v[36:37], v[72:73], -v[36:37]
	v_add_f64 v[32:33], v[32:33], -v[34:35]
	v_add_f64 v[34:35], v[64:65], v[76:77]
	v_add_f64 v[68:69], v[18:19], v[68:69]
	v_add_f64 v[38:39], v[74:75], -v[38:39]
	v_add_f64 v[54:55], v[62:63], v[54:55]
	v_add_f64 v[70:71], v[30:31], -v[28:29]
	;; [unrolled: 2-line block ×3, first 2 shown]
	s_waitcnt lgkmcnt(0)
	s_barrier
	buffer_gl0_inv
	ds_read_b64 v[92:93], v100
	ds_read_b64 v[96:97], v101
	;; [unrolled: 1-line block ×6, first 2 shown]
	v_fma_f64 v[4:5], v[4:5], -0.5, v[0:1]
	v_fma_f64 v[6:7], v[6:7], -0.5, v[18:19]
	;; [unrolled: 1-line block ×5, first 2 shown]
	v_add_nc_u32_e32 v0, 0x800, v105
	v_add_nc_u32_e32 v65, 0xc00, v105
	;; [unrolled: 1-line block ×3, first 2 shown]
	v_add_f64 v[18:19], v[14:15], v[26:27]
	v_add_f64 v[34:35], v[34:35], v[46:47]
	ds_read2_b64 v[28:31], v0 offset0:32 offset1:80
	ds_read2_b64 v[0:3], v0 offset0:128 offset1:176
	v_add_f64 v[24:25], v[68:69], v[48:49]
	v_add_f64 v[26:27], v[54:55], v[44:45]
	;; [unrolled: 1-line block ×3, first 2 shown]
	v_fma_f64 v[46:47], v[36:37], s[6:7], v[4:5]
	v_fma_f64 v[36:37], v[36:37], s[4:5], v[4:5]
	;; [unrolled: 1-line block ×10, first 2 shown]
	ds_read2_b64 v[12:15], v65 offset0:96 offset1:144
	ds_read2_b64 v[4:7], v66 offset0:64 offset1:112
	ds_read2_b64 v[8:11], v66 offset0:160 offset1:208
	s_waitcnt lgkmcnt(0)
	s_barrier
	buffer_gl0_inv
	ds_write2_b64 v60, v[18:19], v[46:47] offset1:16
	ds_write_b64 v60, v[36:37] offset:256
	ds_write2_b64 v59, v[24:25], v[48:49] offset1:16
	ds_write_b64 v59, v[38:39] offset:256
	;; [unrolled: 2-line block ×5, first 2 shown]
	s_and_saveexec_b32 s1, s0
	s_cbranch_execz .LBB0_21
; %bb.20:
	v_add_f64 v[18:19], v[20:21], v[52:53]
	v_add_f64 v[22:23], v[40:41], -v[42:43]
	s_mov_b32 s5, 0x3febb67a
	s_mov_b32 s4, 0xe8584caa
	v_fma_f64 v[18:19], v[18:19], -0.5, v[16:17]
	v_add_f64 v[16:17], v[16:17], v[20:21]
	v_fma_f64 v[20:21], v[22:23], s[4:5], v[18:19]
	s_mov_b32 s5, 0xbfebb67a
	v_add_f64 v[16:17], v[16:17], v[52:53]
	v_fma_f64 v[18:19], v[22:23], s[4:5], v[18:19]
	v_add_nc_u32_e32 v22, 0x1000, v80
	ds_write2_b64 v22, v[16:17], v[20:21] offset0:208 offset1:224
	ds_write_b64 v80, v[18:19] offset:6016
.LBB0_21:
	s_or_b32 exec_lo, exec_lo, s1
	s_waitcnt lgkmcnt(0)
	s_barrier
	buffer_gl0_inv
	s_and_saveexec_b32 s0, vcc_lo
	s_cbranch_execz .LBB0_23
; %bb.22:
	v_mul_u32_u24_e32 v16, 15, v98
	v_add_nc_u32_e32 v80, 0xc00, v105
	v_add_nc_u32_e32 v108, 0x800, v105
	;; [unrolled: 1-line block ×3, first 2 shown]
	v_mad_u64_u32 v[115:116], null, s2, v104, 0
	v_lshlrev_b32_e32 v40, 4, v16
	v_add_nc_u32_e32 v129, 48, v104
	v_add_nc_u32_e32 v130, 0x60, v104
	;; [unrolled: 1-line block ×3, first 2 shown]
	s_clause 0xe
	global_load_dwordx4 v[64:67], v40, s[8:9] offset:656
	global_load_dwordx4 v[60:63], v40, s[8:9] offset:672
	;; [unrolled: 1-line block ×15, first 2 shown]
	ds_read2_b64 v[80:83], v80 offset0:96 offset1:144
	ds_read_b64 v[98:99], v99
	ds_read_b64 v[102:103], v102
	;; [unrolled: 1-line block ×4, first 2 shown]
	ds_read2_b64 v[109:112], v108 offset0:32 offset1:80
	v_or_b32_e32 v132, 0xc0, v104
	v_add_nc_u32_e32 v133, 0xf0, v104
	v_add_nc_u32_e32 v134, 0x120, v104
	;; [unrolled: 1-line block ×3, first 2 shown]
	v_or_b32_e32 v136, 0x180, v104
	v_add_nc_u32_e32 v137, 0x1b0, v104
	v_add_nc_u32_e32 v138, 0x1e0, v104
	;; [unrolled: 1-line block ×3, first 2 shown]
	v_or_b32_e32 v140, 0x240, v104
	s_mov_b32 s0, 0x667f3bcd
	s_mov_b32 s1, 0x3fe6a09e
	;; [unrolled: 1-line block ×9, first 2 shown]
	s_waitcnt vmcnt(14)
	v_mul_f64 v[117:118], v[12:13], v[66:67]
	s_waitcnt lgkmcnt(5)
	v_mul_f64 v[119:120], v[80:81], v[66:67]
	s_waitcnt vmcnt(13)
	v_mul_f64 v[121:122], v[14:15], v[62:63]
	v_mul_f64 v[62:63], v[82:83], v[62:63]
	v_add_co_u32 v66, vcc_lo, s12, v84
	v_add_co_ci_u32_e32 v67, vcc_lo, s13, v85, vcc_lo
	s_waitcnt vmcnt(12)
	v_mul_f64 v[84:85], v[28:29], v[56:57]
	v_mul_f64 v[123:124], v[28:29], v[58:59]
	s_waitcnt vmcnt(11)
	v_mul_f64 v[125:126], v[30:31], v[52:53]
	v_mul_f64 v[127:128], v[30:31], v[54:55]
	ds_read2_b64 v[28:31], v107 offset0:160 offset1:208
	v_fma_f64 v[80:81], v[80:81], v[64:65], -v[117:118]
	v_fma_f64 v[64:65], v[12:13], v[64:65], v[119:120]
	s_waitcnt vmcnt(10)
	v_mul_f64 v[12:13], v[8:9], v[76:77]
	v_mul_f64 v[8:9], v[8:9], v[78:79]
	v_fma_f64 v[82:83], v[82:83], v[60:61], -v[121:122]
	v_fma_f64 v[60:61], v[14:15], v[60:61], v[62:63]
	s_waitcnt vmcnt(9)
	v_mul_f64 v[14:15], v[10:11], v[72:73]
	v_mul_f64 v[10:11], v[10:11], v[74:75]
	s_waitcnt lgkmcnt(1)
	v_fma_f64 v[58:59], v[109:110], v[58:59], v[84:85]
	v_fma_f64 v[56:57], v[109:110], v[56:57], -v[123:124]
	s_waitcnt vmcnt(8)
	v_mul_f64 v[109:110], v[96:97], v[70:71]
	v_mul_f64 v[70:71], v[113:114], v[70:71]
	v_mad_u64_u32 v[117:118], null, s2, v129, 0
	v_mad_u64_u32 v[62:63], null, s2, v130, 0
	;; [unrolled: 1-line block ×4, first 2 shown]
	v_fma_f64 v[54:55], v[111:112], v[54:55], v[125:126]
	v_fma_f64 v[52:53], v[111:112], v[52:53], -v[127:128]
	v_mad_u64_u32 v[111:112], null, s2, v133, 0
	s_waitcnt lgkmcnt(0)
	v_fma_f64 v[78:79], v[28:29], v[78:79], v[12:13]
	v_fma_f64 v[28:29], v[28:29], v[76:77], -v[8:9]
	v_mov_b32_e32 v8, v116
	v_mad_u64_u32 v[121:122], null, s2, v134, 0
	v_fma_f64 v[74:75], v[30:31], v[74:75], v[14:15]
	v_fma_f64 v[30:31], v[30:31], v[72:73], -v[10:11]
	v_mad_u64_u32 v[8:9], null, s3, v104, v[8:9]
	v_mov_b32_e32 v9, v118
	v_mov_b32_e32 v10, v63
	v_mad_u64_u32 v[123:124], null, s2, v135, 0
	v_fma_f64 v[109:110], v[113:114], v[68:69], -v[109:110]
	v_mov_b32_e32 v11, v120
	v_fma_f64 v[68:69], v[96:97], v[68:69], v[70:71]
	v_mov_b32_e32 v12, v85
	v_mad_u64_u32 v[70:71], null, s3, v129, v[9:10]
	v_mad_u64_u32 v[76:77], null, s2, v136, 0
	v_mov_b32_e32 v13, v112
	v_mov_b32_e32 v14, v122
	v_mad_u64_u32 v[72:73], null, s2, v137, 0
	v_mad_u64_u32 v[125:126], null, s2, v138, 0
	;; [unrolled: 1-line block ×4, first 2 shown]
	v_mov_b32_e32 v9, v124
	v_mov_b32_e32 v118, v70
	s_waitcnt vmcnt(7)
	v_mul_f64 v[70:71], v[94:95], v[50:51]
	v_mul_f64 v[50:51], v[102:103], v[50:51]
	v_mad_u64_u32 v[112:113], null, s3, v132, v[12:13]
	v_mad_u64_u32 v[12:13], null, s3, v133, v[13:14]
	;; [unrolled: 1-line block ×3, first 2 shown]
	v_mov_b32_e32 v11, v77
	v_mov_b32_e32 v13, v73
	v_mad_u64_u32 v[113:114], null, s3, v135, v[9:10]
	v_mov_b32_e32 v9, v126
	v_mad_u64_u32 v[126:127], null, s3, v136, v[11:12]
	v_mad_u64_u32 v[127:128], null, s3, v137, v[13:14]
	;; [unrolled: 1-line block ×5, first 2 shown]
	v_mov_b32_e32 v116, v8
	v_mov_b32_e32 v124, v113
	s_waitcnt vmcnt(6)
	v_mul_f64 v[113:114], v[92:93], v[46:47]
	v_mul_f64 v[46:47], v[100:101], v[46:47]
	v_mov_b32_e32 v8, v129
	v_fma_f64 v[70:71], v[102:103], v[48:49], -v[70:71]
	v_mov_b32_e32 v9, v132
	v_fma_f64 v[48:49], v[94:95], v[48:49], v[50:51]
	s_waitcnt vmcnt(5)
	v_mul_f64 v[50:51], v[0:1], v[18:19]
	v_mov_b32_e32 v63, v96
	v_mov_b32_e32 v120, v10
	v_mad_u64_u32 v[96:97], null, s3, v139, v[8:9]
	v_mad_u64_u32 v[132:133], null, s3, v140, v[9:10]
	ds_read2_b64 v[8:11], v108 offset0:128 offset1:176
	s_waitcnt vmcnt(4)
	v_mul_f64 v[94:95], v[2:3], v[34:35]
	v_add_nc_u32_e32 v13, 0x270, v104
	v_add_nc_u32_e32 v138, 0x2a0, v104
	v_mov_b32_e32 v85, v112
	v_mov_b32_e32 v112, v12
	;; [unrolled: 1-line block ×3, first 2 shown]
	v_mad_u64_u32 v[133:134], null, s2, v13, 0
	v_mad_u64_u32 v[135:136], null, s2, v138, 0
	v_fma_f64 v[100:101], v[100:101], v[44:45], -v[113:114]
	v_fma_f64 v[44:45], v[92:93], v[44:45], v[46:47]
	s_waitcnt vmcnt(2)
	v_mul_f64 v[46:47], v[4:5], v[24:25]
	s_waitcnt vmcnt(1)
	v_mul_f64 v[92:93], v[6:7], v[36:37]
	v_mov_b32_e32 v12, v134
	v_mul_f64 v[6:7], v[6:7], v[38:39]
	v_mov_b32_e32 v97, v136
	v_mul_f64 v[4:5], v[4:5], v[26:27]
	v_add_nc_u32_e32 v139, 0x2d0, v104
	v_mad_u64_u32 v[136:137], null, s3, v13, v[12:13]
	ds_read2_b64 v[12:15], v107 offset0:64 offset1:112
	v_mul_f64 v[107:108], v[88:89], v[20:21]
	s_waitcnt lgkmcnt(1)
	v_mul_f64 v[34:35], v[10:11], v[34:35]
	v_fma_f64 v[50:51], v[8:9], v[16:17], -v[50:51]
	v_mul_f64 v[8:9], v[8:9], v[18:19]
	s_waitcnt vmcnt(0)
	v_mul_f64 v[18:19], v[90:91], v[40:41]
	v_mul_f64 v[90:91], v[90:91], v[42:43]
	;; [unrolled: 1-line block ×3, first 2 shown]
	v_fma_f64 v[10:11], v[10:11], v[32:33], -v[94:95]
	ds_read_b64 v[94:95], v106
	v_mad_u64_u32 v[102:103], null, s2, v139, 0
	v_mov_b32_e32 v129, v96
	v_add_f64 v[28:29], v[56:57], -v[28:29]
	v_add_f64 v[60:61], v[48:49], -v[60:61]
	;; [unrolled: 1-line block ×3, first 2 shown]
	v_mov_b32_e32 v134, v136
	v_mov_b32_e32 v77, v126
	;; [unrolled: 1-line block ×3, first 2 shown]
	v_mad_u64_u32 v[103:104], null, s3, v138, v[97:98]
	ds_read_b64 v[104:105], v105
	s_waitcnt lgkmcnt(2)
	v_fma_f64 v[26:27], v[12:13], v[26:27], v[46:47]
	v_fma_f64 v[22:23], v[98:99], v[22:23], v[107:108]
	;; [unrolled: 1-line block ×4, first 2 shown]
	v_fma_f64 v[6:7], v[14:15], v[36:37], -v[6:7]
	v_fma_f64 v[4:5], v[12:13], v[24:25], -v[4:5]
	v_fma_f64 v[0:1], v[0:1], v[16:17], v[8:9]
	s_waitcnt lgkmcnt(1)
	v_fma_f64 v[18:19], v[94:95], v[42:43], v[18:19]
	v_fma_f64 v[32:33], v[94:95], v[40:41], -v[90:91]
	v_fma_f64 v[14:15], v[98:99], v[20:21], -v[88:89]
	v_lshlrev_b64 v[12:13], 4, v[62:63]
	v_add_f64 v[36:37], v[109:110], -v[80:81]
	v_add_f64 v[40:41], v[58:59], -v[78:79]
	;; [unrolled: 1-line block ×5, first 2 shown]
	v_mad_u64_u32 v[96:97], null, s3, v139, v[96:97]
	v_lshlrev_b64 v[46:47], 4, v[115:116]
	s_waitcnt lgkmcnt(0)
	v_add_f64 v[34:35], v[104:105], -v[50:51]
	v_add_f64 v[50:51], v[70:71], -v[82:83]
	v_mov_b32_e32 v136, v103
	v_lshlrev_b64 v[24:25], 4, v[111:112]
	v_add_f64 v[26:27], v[22:23], -v[26:27]
	v_mov_b32_e32 v103, v96
	v_add_f64 v[2:3], v[44:45], -v[2:3]
	v_add_co_u32 v92, vcc_lo, v66, v46
	v_add_f64 v[0:1], v[86:87], -v[0:1]
	v_add_f64 v[38:39], v[18:19], -v[38:39]
	;; [unrolled: 1-line block ×4, first 2 shown]
	v_lshlrev_b64 v[90:91], 4, v[102:103]
	v_add_co_ci_u32_e32 v93, vcc_lo, v67, v47, vcc_lo
	v_add_f64 v[94:95], v[36:37], -v[40:41]
	v_add_f64 v[96:97], v[42:43], v[28:29]
	v_add_f64 v[106:107], v[60:61], v[30:31]
	v_fma_f64 v[40:41], v[58:59], 2.0, -v[40:41]
	v_fma_f64 v[58:59], v[100:101], 2.0, -v[10:11]
	;; [unrolled: 1-line block ×4, first 2 shown]
	v_add_f64 v[102:103], v[50:51], -v[62:63]
	v_lshlrev_b64 v[8:9], 4, v[117:118]
	v_lshlrev_b64 v[16:17], 4, v[119:120]
	v_add_f64 v[46:47], v[34:35], -v[26:27]
	v_fma_f64 v[22:23], v[22:23], 2.0, -v[26:27]
	v_fma_f64 v[44:45], v[44:45], 2.0, -v[2:3]
	;; [unrolled: 1-line block ×3, first 2 shown]
	v_lshlrev_b64 v[20:21], 4, v[84:85]
	v_fma_f64 v[56:57], v[86:87], 2.0, -v[0:1]
	v_add_f64 v[98:99], v[10:11], -v[38:39]
	v_add_f64 v[111:112], v[2:3], v[6:7]
	v_add_f64 v[113:114], v[0:1], v[4:5]
	v_fma_f64 v[4:5], v[14:15], 2.0, -v[4:5]
	v_fma_f64 v[14:15], v[68:69], 2.0, -v[42:43]
	;; [unrolled: 1-line block ×8, first 2 shown]
	v_add_co_u32 v68, vcc_lo, v66, v8
	v_add_co_ci_u32_e32 v69, vcc_lo, v67, v9, vcc_lo
	v_add_co_u32 v70, vcc_lo, v66, v12
	v_fma_f64 v[30:31], v[34:35], 2.0, -v[46:47]
	v_fma_f64 v[34:35], v[36:37], 2.0, -v[94:95]
	;; [unrolled: 1-line block ×8, first 2 shown]
	v_fma_f64 v[8:9], v[94:95], s[0:1], v[46:47]
	v_fma_f64 v[52:53], v[102:103], s[0:1], v[98:99]
	v_add_f64 v[4:5], v[104:105], -v[4:5]
	v_add_f64 v[22:23], v[56:57], -v[22:23]
	;; [unrolled: 1-line block ×8, first 2 shown]
	v_fma_f64 v[60:61], v[106:107], s[0:1], v[111:112]
	v_fma_f64 v[62:63], v[96:97], s[0:1], v[113:114]
	v_add_co_ci_u32_e32 v71, vcc_lo, v67, v13, vcc_lo
	v_add_co_u32 v115, vcc_lo, v66, v16
	v_fma_f64 v[12:13], v[34:35], s[8:9], v[30:31]
	v_add_co_ci_u32_e32 v116, vcc_lo, v67, v17, vcc_lo
	v_fma_f64 v[86:87], v[42:43], s[8:9], v[10:11]
	v_fma_f64 v[100:101], v[50:51], s[8:9], v[2:3]
	;; [unrolled: 1-line block ×5, first 2 shown]
	v_fma_f64 v[16:17], v[104:105], 2.0, -v[4:5]
	v_fma_f64 v[52:53], v[56:57], 2.0, -v[22:23]
	v_fma_f64 v[32:33], v[32:33], 2.0, -v[48:49]
	v_fma_f64 v[44:45], v[44:45], 2.0, -v[18:19]
	v_fma_f64 v[38:39], v[38:39], 2.0, -v[28:29]
	v_fma_f64 v[14:15], v[14:15], 2.0, -v[40:41]
	v_fma_f64 v[56:57], v[58:59], 2.0, -v[6:7]
	v_fma_f64 v[54:55], v[54:55], 2.0, -v[26:27]
	v_add_f64 v[40:41], v[4:5], -v[40:41]
	v_add_f64 v[48:49], v[6:7], -v[48:49]
	v_fma_f64 v[58:59], v[102:103], s[0:1], v[60:61]
	v_fma_f64 v[60:61], v[94:95], s[0:1], v[62:63]
	v_add_f64 v[62:63], v[22:23], v[28:29]
	v_add_f64 v[26:27], v[18:19], v[26:27]
	v_fma_f64 v[94:95], v[36:37], s[8:9], v[12:13]
	s_mov_b32 s2, 0xcf328d46
	s_mov_b32 s3, 0x3fed906b
	v_fma_f64 v[12:13], v[50:51], s[8:9], v[86:87]
	v_fma_f64 v[28:29], v[42:43], s[0:1], v[100:101]
	;; [unrolled: 1-line block ×3, first 2 shown]
	v_add_co_u32 v100, vcc_lo, v66, v20
	v_add_co_ci_u32_e32 v101, vcc_lo, v67, v21, vcc_lo
	v_fma_f64 v[46:47], v[46:47], 2.0, -v[96:97]
	v_add_f64 v[20:21], v[44:45], -v[32:33]
	v_add_f64 v[42:43], v[16:17], -v[38:39]
	;; [unrolled: 1-line block ×3, first 2 shown]
	v_fma_f64 v[32:33], v[98:99], 2.0, -v[8:9]
	v_add_f64 v[14:15], v[56:57], -v[54:55]
	v_fma_f64 v[54:55], v[4:5], 2.0, -v[40:41]
	v_fma_f64 v[34:35], v[6:7], 2.0, -v[48:49]
	v_add_co_u32 v102, vcc_lo, v66, v24
	v_fma_f64 v[104:105], v[22:23], 2.0, -v[62:63]
	v_fma_f64 v[36:37], v[18:19], 2.0, -v[26:27]
	;; [unrolled: 1-line block ×3, first 2 shown]
	v_add_co_ci_u32_e32 v103, vcc_lo, v67, v25, vcc_lo
	v_fma_f64 v[38:39], v[10:11], 2.0, -v[12:13]
	v_fma_f64 v[30:31], v[2:3], 2.0, -v[28:29]
	v_fma_f64 v[108:109], v[0:1], 2.0, -v[86:87]
	v_fma_f64 v[24:25], v[111:112], 2.0, -v[58:59]
	v_fma_f64 v[98:99], v[113:114], 2.0, -v[60:61]
	s_mov_b32 s10, s2
	v_lshlrev_b64 v[64:65], 4, v[121:122]
	v_fma_f64 v[0:1], v[8:9], s[2:3], v[96:97]
	v_fma_f64 v[4:5], v[58:59], s[2:3], v[60:61]
	;; [unrolled: 1-line block ×6, first 2 shown]
	v_fma_f64 v[121:122], v[16:17], 2.0, -v[42:43]
	v_fma_f64 v[117:118], v[34:35], s[8:9], v[54:55]
	v_fma_f64 v[16:17], v[56:57], 2.0, -v[14:15]
	v_fma_f64 v[52:53], v[52:53], 2.0, -v[50:51]
	;; [unrolled: 1-line block ×3, first 2 shown]
	v_lshlrev_b64 v[74:75], 4, v[123:124]
	v_fma_f64 v[10:11], v[26:27], s[0:1], v[62:63]
	v_fma_f64 v[119:120], v[36:37], s[8:9], v[104:105]
	v_mov_b32_e32 v73, v127
	v_fma_f64 v[56:57], v[38:39], s[10:11], v[106:107]
	v_lshlrev_b64 v[76:77], 4, v[76:77]
	v_fma_f64 v[123:124], v[30:31], s[10:11], v[108:109]
	v_add_co_u32 v64, vcc_lo, v66, v64
	v_fma_f64 v[112:113], v[24:25], s[4:5], v[98:99]
	v_mov_b32_e32 v126, v130
	v_fma_f64 v[2:3], v[58:59], s[4:5], v[0:1]
	v_fma_f64 v[0:1], v[8:9], s[6:7], v[4:5]
	;; [unrolled: 1-line block ×3, first 2 shown]
	v_add_f64 v[8:9], v[50:51], v[14:15]
	v_fma_f64 v[14:15], v[28:29], s[10:11], v[18:19]
	v_fma_f64 v[12:13], v[12:13], s[2:3], v[22:23]
	;; [unrolled: 1-line block ×4, first 2 shown]
	v_add_f64 v[26:27], v[121:122], -v[16:17]
	v_add_co_ci_u32_e32 v65, vcc_lo, v67, v65, vcc_lo
	v_add_f64 v[24:25], v[52:53], -v[44:45]
	v_fma_f64 v[4:5], v[48:49], s[0:1], v[10:11]
	v_add_f64 v[10:11], v[42:43], -v[20:21]
	v_fma_f64 v[20:21], v[34:35], s[0:1], v[119:120]
	v_fma_f64 v[30:31], v[30:31], s[4:5], v[56:57]
	v_lshlrev_b64 v[72:73], 4, v[72:73]
	v_fma_f64 v[28:29], v[38:39], s[6:7], v[123:124]
	v_add_co_u32 v74, vcc_lo, v66, v74
	v_fma_f64 v[16:17], v[32:33], s[2:3], v[112:113]
	v_add_co_ci_u32_e32 v75, vcc_lo, v67, v75, vcc_lo
	v_lshlrev_b64 v[78:79], 4, v[125:126]
	v_add_co_u32 v76, vcc_lo, v66, v76
	v_fma_f64 v[38:39], v[40:41], 2.0, -v[6:7]
	v_fma_f64 v[40:41], v[50:51], 2.0, -v[8:9]
	v_add_co_ci_u32_e32 v77, vcc_lo, v67, v77, vcc_lo
	v_fma_f64 v[50:51], v[54:55], 2.0, -v[22:23]
	v_fma_f64 v[54:55], v[121:122], 2.0, -v[26:27]
	v_lshlrev_b64 v[80:81], 4, v[128:129]
	v_fma_f64 v[52:53], v[52:53], 2.0, -v[24:25]
	v_add_co_u32 v72, vcc_lo, v66, v72
	v_fma_f64 v[48:49], v[104:105], 2.0, -v[20:21]
	v_fma_f64 v[58:59], v[106:107], 2.0, -v[30:31]
	v_fma_f64 v[46:47], v[46:47], 2.0, -v[18:19]
	v_fma_f64 v[56:57], v[108:109], 2.0, -v[28:29]
	v_add_co_ci_u32_e32 v73, vcc_lo, v67, v73, vcc_lo
	v_fma_f64 v[44:45], v[98:99], 2.0, -v[16:17]
	v_fma_f64 v[42:43], v[42:43], 2.0, -v[10:11]
	v_lshlrev_b64 v[82:83], 4, v[131:132]
	v_add_co_u32 v78, vcc_lo, v66, v78
	v_fma_f64 v[32:33], v[60:61], 2.0, -v[0:1]
	v_fma_f64 v[36:37], v[62:63], 2.0, -v[4:5]
	;; [unrolled: 1-line block ×4, first 2 shown]
	v_add_co_ci_u32_e32 v79, vcc_lo, v67, v79, vcc_lo
	v_fma_f64 v[34:35], v[96:97], 2.0, -v[2:3]
	v_lshlrev_b64 v[84:85], 4, v[133:134]
	v_add_co_u32 v80, vcc_lo, v66, v80
	v_add_co_ci_u32_e32 v81, vcc_lo, v67, v81, vcc_lo
	v_lshlrev_b64 v[88:89], 4, v[135:136]
	v_add_co_u32 v82, vcc_lo, v66, v82
	v_add_co_ci_u32_e32 v83, vcc_lo, v67, v83, vcc_lo
	v_add_co_u32 v84, vcc_lo, v66, v84
	v_add_co_ci_u32_e32 v85, vcc_lo, v67, v85, vcc_lo
	;; [unrolled: 2-line block ×4, first 2 shown]
	global_store_dwordx4 v[92:93], v[52:55], off
	global_store_dwordx4 v[68:69], v[56:59], off
	;; [unrolled: 1-line block ×16, first 2 shown]
.LBB0_23:
	s_endpgm
	.section	.rodata,"a",@progbits
	.p2align	6, 0x0
	.amdhsa_kernel fft_rtc_back_len768_factors_16_3_16_wgs_48_tpt_48_halfLds_dp_ip_CI_sbrr_dirReg
		.amdhsa_group_segment_fixed_size 0
		.amdhsa_private_segment_fixed_size 0
		.amdhsa_kernarg_size 88
		.amdhsa_user_sgpr_count 6
		.amdhsa_user_sgpr_private_segment_buffer 1
		.amdhsa_user_sgpr_dispatch_ptr 0
		.amdhsa_user_sgpr_queue_ptr 0
		.amdhsa_user_sgpr_kernarg_segment_ptr 1
		.amdhsa_user_sgpr_dispatch_id 0
		.amdhsa_user_sgpr_flat_scratch_init 0
		.amdhsa_user_sgpr_private_segment_size 0
		.amdhsa_wavefront_size32 1
		.amdhsa_uses_dynamic_stack 0
		.amdhsa_system_sgpr_private_segment_wavefront_offset 0
		.amdhsa_system_sgpr_workgroup_id_x 1
		.amdhsa_system_sgpr_workgroup_id_y 0
		.amdhsa_system_sgpr_workgroup_id_z 0
		.amdhsa_system_sgpr_workgroup_info 0
		.amdhsa_system_vgpr_workitem_id 0
		.amdhsa_next_free_vgpr 143
		.amdhsa_next_free_sgpr 23
		.amdhsa_reserve_vcc 1
		.amdhsa_reserve_flat_scratch 0
		.amdhsa_float_round_mode_32 0
		.amdhsa_float_round_mode_16_64 0
		.amdhsa_float_denorm_mode_32 3
		.amdhsa_float_denorm_mode_16_64 3
		.amdhsa_dx10_clamp 1
		.amdhsa_ieee_mode 1
		.amdhsa_fp16_overflow 0
		.amdhsa_workgroup_processor_mode 1
		.amdhsa_memory_ordered 1
		.amdhsa_forward_progress 0
		.amdhsa_shared_vgpr_count 0
		.amdhsa_exception_fp_ieee_invalid_op 0
		.amdhsa_exception_fp_denorm_src 0
		.amdhsa_exception_fp_ieee_div_zero 0
		.amdhsa_exception_fp_ieee_overflow 0
		.amdhsa_exception_fp_ieee_underflow 0
		.amdhsa_exception_fp_ieee_inexact 0
		.amdhsa_exception_int_div_zero 0
	.end_amdhsa_kernel
	.text
.Lfunc_end0:
	.size	fft_rtc_back_len768_factors_16_3_16_wgs_48_tpt_48_halfLds_dp_ip_CI_sbrr_dirReg, .Lfunc_end0-fft_rtc_back_len768_factors_16_3_16_wgs_48_tpt_48_halfLds_dp_ip_CI_sbrr_dirReg
                                        ; -- End function
	.section	.AMDGPU.csdata,"",@progbits
; Kernel info:
; codeLenInByte = 8832
; NumSgprs: 25
; NumVgprs: 143
; ScratchSize: 0
; MemoryBound: 1
; FloatMode: 240
; IeeeMode: 1
; LDSByteSize: 0 bytes/workgroup (compile time only)
; SGPRBlocks: 3
; VGPRBlocks: 17
; NumSGPRsForWavesPerEU: 25
; NumVGPRsForWavesPerEU: 143
; Occupancy: 7
; WaveLimiterHint : 1
; COMPUTE_PGM_RSRC2:SCRATCH_EN: 0
; COMPUTE_PGM_RSRC2:USER_SGPR: 6
; COMPUTE_PGM_RSRC2:TRAP_HANDLER: 0
; COMPUTE_PGM_RSRC2:TGID_X_EN: 1
; COMPUTE_PGM_RSRC2:TGID_Y_EN: 0
; COMPUTE_PGM_RSRC2:TGID_Z_EN: 0
; COMPUTE_PGM_RSRC2:TIDIG_COMP_CNT: 0
	.text
	.p2alignl 6, 3214868480
	.fill 48, 4, 3214868480
	.type	__hip_cuid_4f26b586bc565944,@object ; @__hip_cuid_4f26b586bc565944
	.section	.bss,"aw",@nobits
	.globl	__hip_cuid_4f26b586bc565944
__hip_cuid_4f26b586bc565944:
	.byte	0                               ; 0x0
	.size	__hip_cuid_4f26b586bc565944, 1

	.ident	"AMD clang version 19.0.0git (https://github.com/RadeonOpenCompute/llvm-project roc-6.4.0 25133 c7fe45cf4b819c5991fe208aaa96edf142730f1d)"
	.section	".note.GNU-stack","",@progbits
	.addrsig
	.addrsig_sym __hip_cuid_4f26b586bc565944
	.amdgpu_metadata
---
amdhsa.kernels:
  - .args:
      - .actual_access:  read_only
        .address_space:  global
        .offset:         0
        .size:           8
        .value_kind:     global_buffer
      - .offset:         8
        .size:           8
        .value_kind:     by_value
      - .actual_access:  read_only
        .address_space:  global
        .offset:         16
        .size:           8
        .value_kind:     global_buffer
      - .actual_access:  read_only
        .address_space:  global
        .offset:         24
        .size:           8
        .value_kind:     global_buffer
      - .offset:         32
        .size:           8
        .value_kind:     by_value
      - .actual_access:  read_only
        .address_space:  global
        .offset:         40
        .size:           8
        .value_kind:     global_buffer
      - .actual_access:  read_only
        .address_space:  global
        .offset:         48
        .size:           8
        .value_kind:     global_buffer
      - .offset:         56
        .size:           4
        .value_kind:     by_value
      - .actual_access:  read_only
        .address_space:  global
        .offset:         64
        .size:           8
        .value_kind:     global_buffer
      - .actual_access:  read_only
        .address_space:  global
        .offset:         72
        .size:           8
        .value_kind:     global_buffer
      - .address_space:  global
        .offset:         80
        .size:           8
        .value_kind:     global_buffer
    .group_segment_fixed_size: 0
    .kernarg_segment_align: 8
    .kernarg_segment_size: 88
    .language:       OpenCL C
    .language_version:
      - 2
      - 0
    .max_flat_workgroup_size: 48
    .name:           fft_rtc_back_len768_factors_16_3_16_wgs_48_tpt_48_halfLds_dp_ip_CI_sbrr_dirReg
    .private_segment_fixed_size: 0
    .sgpr_count:     25
    .sgpr_spill_count: 0
    .symbol:         fft_rtc_back_len768_factors_16_3_16_wgs_48_tpt_48_halfLds_dp_ip_CI_sbrr_dirReg.kd
    .uniform_work_group_size: 1
    .uses_dynamic_stack: false
    .vgpr_count:     143
    .vgpr_spill_count: 0
    .wavefront_size: 32
    .workgroup_processor_mode: 1
amdhsa.target:   amdgcn-amd-amdhsa--gfx1030
amdhsa.version:
  - 1
  - 2
...

	.end_amdgpu_metadata
